;; amdgpu-corpus repo=ROCm/AMDMIGraphX kind=compiled arch=gfx906 opt=O3
	.text
	.amdgcn_target "amdgcn-amd-amdhsa--gfx906"
	.amdhsa_code_object_version 6
	.protected	softmax_f32             ; -- Begin function softmax_f32
	.globl	softmax_f32
	.p2align	8
	.type	softmax_f32,@function
softmax_f32:                            ; @softmax_f32
; %bb.0:
	s_load_dword s0, s[4:5], 0x1c
	s_load_dwordx4 s[8:11], s[4:5], 0x0
	v_mov_b32_e32 v3, 0
	v_lshlrev_b32_e32 v6, 2, v0
	v_mov_b32_e32 v8, 0
	s_waitcnt lgkmcnt(0)
	s_and_b32 s0, s0, 0xffff
	s_mul_i32 s6, s6, s0
	v_add_lshl_u32 v1, s6, v0, 2
	v_and_b32_e32 v2, 0xfffffc00, v1
	v_lshlrev_b64 v[1:2], 2, v[2:3]
	v_mov_b32_e32 v4, s9
	v_add_co_u32_e32 v5, vcc, s8, v1
	v_addc_co_u32_e32 v7, vcc, v4, v2, vcc
	v_add_co_u32_e32 v4, vcc, v5, v6
	v_addc_co_u32_e32 v5, vcc, 0, v7, vcc
	global_load_dword v9, v[4:5], off
	s_movk_i32 s0, 0x300
	v_cmp_gt_u32_e64 s[4:5], s0, v0
	s_and_saveexec_b64 s[0:1], s[4:5]
	s_cbranch_execz .LBB0_2
; %bb.1:
	global_load_dword v8, v[4:5], off offset:1024
.LBB0_2:
	s_or_b64 exec, exec, s[0:1]
	s_movk_i32 s0, 0x200
	v_cmp_gt_u32_e64 s[2:3], s0, v0
	s_and_saveexec_b64 s[0:1], s[2:3]
	s_cbranch_execz .LBB0_4
; %bb.3:
	global_load_dword v3, v[4:5], off offset:2048
.LBB0_4:
	s_or_b64 exec, exec, s[0:1]
	s_movk_i32 s0, 0x100
	v_cmp_gt_u32_e64 s[0:1], s0, v0
	v_mov_b32_e32 v7, 0
	s_and_saveexec_b64 s[6:7], s[0:1]
	s_cbranch_execz .LBB0_6
; %bb.5:
	global_load_dword v7, v[4:5], off offset:3072
.LBB0_6:
	s_or_b64 exec, exec, s[6:7]
	s_waitcnt vmcnt(0)
	v_max_f32_e32 v4, v9, v9
	v_max_f32_e32 v4, 0xff7fffff, v4
	v_max_f32_e32 v5, v8, v8
	v_max_f32_e32 v5, v4, v5
	v_cndmask_b32_e64 v4, v4, v5, s[4:5]
	v_max_f32_e32 v5, v3, v3
	v_max_f32_e32 v5, v4, v5
	v_cndmask_b32_e64 v4, v4, v5, s[2:3]
	v_max_f32_e32 v5, v7, v7
	v_max_f32_e32 v5, v4, v5
	v_cndmask_b32_e64 v4, v4, v5, s[0:1]
	v_and_b32_e32 v5, 63, v0
	s_mov_b32 s8, 0xff7fffff
	v_cmp_eq_u32_e32 vcc, 63, v5
	v_lshrrev_b32_e32 v0, 4, v0
	;;#ASMSTART
	s_nop 4
v_max_f32 v4 v4 v4 row_shr:1
s_nop 1
v_max_f32 v4 v4 v4 row_shr:2
s_nop 1
v_max_f32 v4 v4 v4 row_shr:4 bank_mask:0xe
s_nop 1
v_max_f32 v4 v4 v4 row_shr:8 bank_mask:0xc
s_nop 1
v_max_f32 v4 v4 v4 row_bcast:15 row_mask:0xa
s_nop 1
v_max_f32 v4 v4 v4 row_bcast:31 row_mask:0xc
s_nop 1

	;;#ASMEND
	s_and_saveexec_b64 s[6:7], vcc
	s_cbranch_execz .LBB0_8
; %bb.7:
	v_and_b32_e32 v5, 60, v0
	ds_write_b32 v5, v4
.LBB0_8:
	s_or_b64 exec, exec, s[6:7]
	v_mov_b32_e32 v5, 0
	s_waitcnt lgkmcnt(0)
	s_barrier
	ds_read_b128 v[10:13], v5
	s_mov_b32 s9, 0x3fb8aa3b
	s_mov_b32 s12, 0x42b17218
	s_waitcnt lgkmcnt(0)
	v_max3_f32 v4, v10, s8, v11
	v_max3_f32 v4, v4, v12, v13
	v_sub_f32_e32 v9, v9, v4
	v_mul_f32_e32 v10, 0x3fb8aa3b, v9
	v_fma_f32 v11, v9, s9, -v10
	v_rndne_f32_e32 v12, v10
	v_fmac_f32_e32 v11, 0x32a5705f, v9
	v_sub_f32_e32 v10, v10, v12
	v_add_f32_e32 v10, v10, v11
	v_cvt_i32_f32_e32 v11, v12
	v_exp_f32_e32 v10, v10
	v_sub_f32_e32 v8, v8, v4
	s_mov_b32 s8, 0xc2ce8ed0
	v_cmp_ngt_f32_e64 s[6:7], s8, v9
	v_ldexp_f32 v10, v10, v11
	v_mul_f32_e32 v11, 0x3fb8aa3b, v8
	v_fma_f32 v12, v8, s9, -v11
	v_rndne_f32_e32 v13, v11
	v_fmac_f32_e32 v12, 0x32a5705f, v8
	v_sub_f32_e32 v11, v11, v13
	v_add_f32_e32 v11, v11, v12
	v_exp_f32_e32 v11, v11
	v_cvt_i32_f32_e32 v12, v13
	v_cndmask_b32_e64 v10, 0, v10, s[6:7]
	v_mov_b32_e32 v13, 0x7f800000
	v_cmp_nlt_f32_e64 s[6:7], s12, v9
	v_sub_f32_e32 v3, v3, v4
	v_cndmask_b32_e64 v9, v13, v10, s[6:7]
	v_ldexp_f32 v10, v11, v12
	v_mul_f32_e32 v11, 0x3fb8aa3b, v3
	v_fma_f32 v12, v3, s9, -v11
	v_rndne_f32_e32 v14, v11
	v_fmac_f32_e32 v12, 0x32a5705f, v3
	v_sub_f32_e32 v11, v11, v14
	v_add_f32_e32 v11, v11, v12
	v_exp_f32_e32 v11, v11
	v_cvt_i32_f32_e32 v12, v14
	v_cmp_ngt_f32_e64 s[6:7], s8, v8
	v_sub_f32_e32 v7, v7, v4
	v_cndmask_b32_e64 v10, 0, v10, s[6:7]
	v_cmp_nlt_f32_e64 s[6:7], s12, v8
	v_mul_f32_e32 v4, 0x3fb8aa3b, v7
	v_cndmask_b32_e64 v8, v13, v10, s[6:7]
	v_ldexp_f32 v10, v11, v12
	v_fma_f32 v11, v7, s9, -v4
	v_rndne_f32_e32 v12, v4
	v_fmac_f32_e32 v11, 0x32a5705f, v7
	v_sub_f32_e32 v4, v4, v12
	v_add_f32_e32 v4, v4, v11
	v_exp_f32_e32 v11, v4
	v_cvt_i32_f32_e32 v12, v12
	v_cmp_ngt_f32_e64 s[6:7], s8, v3
	v_cndmask_b32_e64 v4, 0, v10, s[6:7]
	v_cmp_nlt_f32_e64 s[6:7], s12, v3
	v_cndmask_b32_e64 v4, v13, v4, s[6:7]
	v_ldexp_f32 v3, v11, v12
	v_cmp_ngt_f32_e64 s[6:7], s8, v7
	v_cndmask_b32_e64 v3, 0, v3, s[6:7]
	v_cmp_nlt_f32_e64 s[6:7], s12, v7
	v_add_f32_e32 v7, v8, v9
	v_cndmask_b32_e64 v7, v9, v7, s[4:5]
	v_add_f32_e32 v10, v4, v7
	v_cndmask_b32_e64 v3, v13, v3, s[6:7]
	v_cndmask_b32_e64 v7, v7, v10, s[2:3]
	v_add_f32_e32 v10, v3, v7
	v_cndmask_b32_e64 v7, v7, v10, s[0:1]
	;;#ASMSTART
	s_nop 4
v_add_f32 v7 v7 v7 row_shr:1
s_nop 1
v_add_f32 v7 v7 v7 row_shr:2
s_nop 1
v_add_f32 v7 v7 v7 row_shr:4 bank_mask:0xe
s_nop 1
v_add_f32 v7 v7 v7 row_shr:8 bank_mask:0xc
s_nop 1
v_add_f32 v7 v7 v7 row_bcast:15 row_mask:0xa
s_nop 1
v_add_f32 v7 v7 v7 row_bcast:31 row_mask:0xc
s_nop 1

	;;#ASMEND
	s_and_saveexec_b64 s[6:7], vcc
	s_cbranch_execz .LBB0_10
; %bb.9:
	v_and_b32_e32 v0, 60, v0
	ds_write_b32 v0, v7 offset:16
.LBB0_10:
	s_or_b64 exec, exec, s[6:7]
	s_waitcnt lgkmcnt(0)
	s_barrier
	ds_read_b128 v[10:13], v5 offset:16
	s_waitcnt lgkmcnt(0)
	v_add_f32_e32 v0, 0, v10
	v_add_f32_e32 v0, v0, v11
	;; [unrolled: 1-line block ×4, first 2 shown]
	v_div_scale_f32 v0, s[6:7], v5, v5, v9
	v_div_scale_f32 v7, vcc, v9, v5, v9
	v_rcp_f32_e32 v10, v0
	v_fma_f32 v11, -v0, v10, 1.0
	v_fmac_f32_e32 v10, v11, v10
	v_mul_f32_e32 v11, v7, v10
	v_fma_f32 v12, -v0, v11, v7
	v_fmac_f32_e32 v11, v12, v10
	v_fma_f32 v0, -v0, v11, v7
	v_div_fmas_f32 v7, v0, v10, v11
	v_mov_b32_e32 v0, s11
	v_add_co_u32_e32 v1, vcc, s10, v1
	v_addc_co_u32_e32 v2, vcc, v0, v2, vcc
	v_add_co_u32_e32 v0, vcc, v1, v6
	v_addc_co_u32_e32 v1, vcc, 0, v2, vcc
	v_div_fixup_f32 v2, v7, v5, v9
	global_store_dword v[0:1], v2, off
	s_and_saveexec_b64 s[6:7], s[4:5]
	s_cbranch_execnz .LBB0_14
; %bb.11:
	s_or_b64 exec, exec, s[6:7]
	s_and_saveexec_b64 s[4:5], s[2:3]
	s_cbranch_execnz .LBB0_15
.LBB0_12:
	s_or_b64 exec, exec, s[4:5]
	s_and_saveexec_b64 s[2:3], s[0:1]
	s_cbranch_execnz .LBB0_16
.LBB0_13:
	s_endpgm
.LBB0_14:
	v_div_scale_f32 v2, s[4:5], v5, v5, v8
	v_div_scale_f32 v6, vcc, v8, v5, v8
	v_rcp_f32_e32 v7, v2
	v_fma_f32 v9, -v2, v7, 1.0
	v_fmac_f32_e32 v7, v9, v7
	v_mul_f32_e32 v9, v6, v7
	v_fma_f32 v10, -v2, v9, v6
	v_fmac_f32_e32 v9, v10, v7
	v_fma_f32 v2, -v2, v9, v6
	v_div_fmas_f32 v2, v2, v7, v9
	v_div_fixup_f32 v2, v2, v5, v8
	global_store_dword v[0:1], v2, off offset:1024
	s_or_b64 exec, exec, s[6:7]
	s_and_saveexec_b64 s[4:5], s[2:3]
	s_cbranch_execz .LBB0_12
.LBB0_15:
	v_div_scale_f32 v2, s[2:3], v5, v5, v4
	v_div_scale_f32 v6, vcc, v4, v5, v4
	v_rcp_f32_e32 v7, v2
	v_fma_f32 v8, -v2, v7, 1.0
	v_fmac_f32_e32 v7, v8, v7
	v_mul_f32_e32 v8, v6, v7
	v_fma_f32 v9, -v2, v8, v6
	v_fmac_f32_e32 v8, v9, v7
	v_fma_f32 v2, -v2, v8, v6
	v_div_fmas_f32 v2, v2, v7, v8
	v_div_fixup_f32 v2, v2, v5, v4
	global_store_dword v[0:1], v2, off offset:2048
	s_or_b64 exec, exec, s[4:5]
	s_and_saveexec_b64 s[2:3], s[0:1]
	s_cbranch_execz .LBB0_13
.LBB0_16:
	v_div_scale_f32 v2, s[0:1], v5, v5, v3
	v_div_scale_f32 v4, vcc, v3, v5, v3
	v_rcp_f32_e32 v6, v2
	v_fma_f32 v7, -v2, v6, 1.0
	v_fmac_f32_e32 v6, v7, v6
	v_mul_f32_e32 v7, v4, v6
	v_fma_f32 v8, -v2, v7, v4
	v_fmac_f32_e32 v7, v8, v6
	v_fma_f32 v2, -v2, v7, v4
	v_div_fmas_f32 v2, v2, v6, v7
	v_div_fixup_f32 v2, v2, v5, v3
	global_store_dword v[0:1], v2, off offset:3072
	s_endpgm
	.section	.rodata,"a",@progbits
	.p2align	6, 0x0
	.amdhsa_kernel softmax_f32
		.amdhsa_group_segment_fixed_size 32
		.amdhsa_private_segment_fixed_size 0
		.amdhsa_kernarg_size 272
		.amdhsa_user_sgpr_count 6
		.amdhsa_user_sgpr_private_segment_buffer 1
		.amdhsa_user_sgpr_dispatch_ptr 0
		.amdhsa_user_sgpr_queue_ptr 0
		.amdhsa_user_sgpr_kernarg_segment_ptr 1
		.amdhsa_user_sgpr_dispatch_id 0
		.amdhsa_user_sgpr_flat_scratch_init 0
		.amdhsa_user_sgpr_private_segment_size 0
		.amdhsa_uses_dynamic_stack 0
		.amdhsa_system_sgpr_private_segment_wavefront_offset 0
		.amdhsa_system_sgpr_workgroup_id_x 1
		.amdhsa_system_sgpr_workgroup_id_y 0
		.amdhsa_system_sgpr_workgroup_id_z 0
		.amdhsa_system_sgpr_workgroup_info 0
		.amdhsa_system_vgpr_workitem_id 0
		.amdhsa_next_free_vgpr 15
		.amdhsa_next_free_sgpr 13
		.amdhsa_reserve_vcc 1
		.amdhsa_reserve_flat_scratch 0
		.amdhsa_float_round_mode_32 0
		.amdhsa_float_round_mode_16_64 0
		.amdhsa_float_denorm_mode_32 3
		.amdhsa_float_denorm_mode_16_64 3
		.amdhsa_dx10_clamp 1
		.amdhsa_ieee_mode 1
		.amdhsa_fp16_overflow 0
		.amdhsa_exception_fp_ieee_invalid_op 0
		.amdhsa_exception_fp_denorm_src 0
		.amdhsa_exception_fp_ieee_div_zero 0
		.amdhsa_exception_fp_ieee_overflow 0
		.amdhsa_exception_fp_ieee_underflow 0
		.amdhsa_exception_fp_ieee_inexact 0
		.amdhsa_exception_int_div_zero 0
	.end_amdhsa_kernel
	.text
.Lfunc_end0:
	.size	softmax_f32, .Lfunc_end0-softmax_f32
                                        ; -- End function
	.section	.AMDGPU.csdata,"",@progbits
; Kernel info:
; codeLenInByte = 1436
; NumSgprs: 17
; NumVgprs: 15
; ScratchSize: 0
; MemoryBound: 0
; FloatMode: 240
; IeeeMode: 1
; LDSByteSize: 32 bytes/workgroup (compile time only)
; SGPRBlocks: 2
; VGPRBlocks: 3
; NumSGPRsForWavesPerEU: 17
; NumVGPRsForWavesPerEU: 15
; Occupancy: 8
; WaveLimiterHint : 0
; COMPUTE_PGM_RSRC2:SCRATCH_EN: 0
; COMPUTE_PGM_RSRC2:USER_SGPR: 6
; COMPUTE_PGM_RSRC2:TRAP_HANDLER: 0
; COMPUTE_PGM_RSRC2:TGID_X_EN: 1
; COMPUTE_PGM_RSRC2:TGID_Y_EN: 0
; COMPUTE_PGM_RSRC2:TGID_Z_EN: 0
; COMPUTE_PGM_RSRC2:TIDIG_COMP_CNT: 0
	.text
	.protected	softmax_f16             ; -- Begin function softmax_f16
	.globl	softmax_f16
	.p2align	8
	.type	softmax_f16,@function
softmax_f16:                            ; @softmax_f16
; %bb.0:
	s_load_dword s0, s[4:5], 0x1c
	s_load_dwordx4 s[16:19], s[4:5], 0x0
	v_mov_b32_e32 v3, 0
	v_mov_b32_e32 v5, 0
	s_waitcnt lgkmcnt(0)
	s_and_b32 s0, s0, 0xffff
	s_mul_i32 s6, s6, s0
	v_add_u32_e32 v1, s6, v0
	v_bfe_u32 v2, v1, 8, 4
	v_lshrrev_b32_e32 v1, 12, v1
	v_mul_u32_u24_e32 v1, 0x3100, v1
	s_movk_i32 s0, 0x310
	v_mad_u32_u24 v2, v2, s0, v1
	v_lshlrev_b64 v[1:2], 1, v[2:3]
	v_mov_b32_e32 v4, s17
	v_add_co_u32_e32 v8, vcc, s16, v1
	v_addc_co_u32_e32 v9, vcc, v4, v2, vcc
	v_cmp_gt_u32_e32 vcc, s0, v0
	v_lshlrev_b32_e32 v4, 1, v0
	s_and_saveexec_b64 s[2:3], vcc
	s_cbranch_execz .LBB1_2
; %bb.1:
	v_add_co_u32_e64 v5, s[0:1], v8, v4
	v_addc_co_u32_e64 v6, s[0:1], 0, v9, s[0:1]
	global_load_ushort v5, v[5:6], off
.LBB1_2:
	s_or_b64 exec, exec, s[2:3]
	s_movk_i32 s0, 0x210
	v_cmp_gt_u32_e64 s[4:5], s0, v0
	s_and_saveexec_b64 s[2:3], s[4:5]
	s_cbranch_execz .LBB1_4
; %bb.3:
	v_add_co_u32_e64 v6, s[0:1], v8, v4
	v_addc_co_u32_e64 v7, s[0:1], 0, v9, s[0:1]
	global_load_ushort v3, v[6:7], off offset:512
.LBB1_4:
	s_or_b64 exec, exec, s[2:3]
	s_movk_i32 s0, 0x110
	v_cmp_gt_u32_e64 s[2:3], s0, v0
	v_mov_b32_e32 v6, 0
	v_mov_b32_e32 v7, 0
	s_and_saveexec_b64 s[6:7], s[2:3]
	s_cbranch_execz .LBB1_6
; %bb.5:
	v_add_co_u32_e64 v10, s[0:1], v8, v4
	v_addc_co_u32_e64 v11, s[0:1], 0, v9, s[0:1]
	global_load_ushort v7, v[10:11], off offset:1024
.LBB1_6:
	s_or_b64 exec, exec, s[6:7]
	v_cmp_gt_u32_e64 s[0:1], 16, v0
	s_and_saveexec_b64 s[8:9], s[0:1]
	s_cbranch_execz .LBB1_8
; %bb.7:
	v_add_co_u32_e64 v8, s[6:7], v8, v4
	v_addc_co_u32_e64 v9, s[6:7], 0, v9, s[6:7]
	global_load_ushort v6, v[8:9], off offset:1536
.LBB1_8:
	s_or_b64 exec, exec, s[8:9]
	s_waitcnt vmcnt(0)
	v_and_b32_e32 v8, 0x7fff, v5
	s_movk_i32 s14, 0x7c01
	s_mov_b32 s8, 0xfbff
	v_cmp_gt_u16_e64 s[6:7], s14, v8
	v_mov_b32_e32 v8, 0xfbff
	v_cmp_gt_f16_e64 s[8:9], s8, v5
	v_cndmask_b32_e64 v9, v5, v8, s[8:9]
	s_and_b64 s[10:11], vcc, s[6:7]
	v_cndmask_b32_e64 v8, v8, v9, s[10:11]
	s_and_saveexec_b64 s[12:13], s[4:5]
	s_cbranch_execnz .LBB1_21
; %bb.9:
	s_or_b64 exec, exec, s[12:13]
	s_and_saveexec_b64 s[14:15], s[2:3]
	s_cbranch_execnz .LBB1_22
.LBB1_10:
	s_or_b64 exec, exec, s[14:15]
	s_and_saveexec_b64 s[14:15], s[0:1]
	s_cbranch_execz .LBB1_12
.LBB1_11:
	v_and_b32_e32 v9, 0x7fff, v8
	s_movk_i32 s10, 0x7c00
	v_cmp_lt_u16_e64 s[6:7], s10, v9
	v_and_b32_e32 v9, 0x7fff, v6
	s_movk_i32 s8, 0x7c01
	v_cmp_lt_u16_e64 s[10:11], s10, v9
	v_cmp_gt_f16_e64 s[12:13], v8, v6
	v_cmp_gt_u16_e64 s[8:9], s8, v9
	v_cndmask_b32_e64 v9, v6, v8, s[12:13]
	v_mov_b32_e32 v10, 0x7fff
	s_and_b64 s[10:11], s[10:11], s[6:7]
	v_cndmask_b32_e64 v9, v9, v10, s[10:11]
	s_or_b64 s[10:11], s[8:9], s[6:7]
	v_cndmask_b32_e64 v8, v8, v9, s[10:11]
	s_and_b64 s[6:7], s[8:9], s[6:7]
	v_cndmask_b32_e64 v8, v8, v6, s[6:7]
.LBB1_12:
	s_or_b64 exec, exec, s[14:15]
	v_and_b32_e32 v9, 63, v0
	v_cmp_eq_u32_e64 s[6:7], 63, v9
	;;#ASMSTART
	s_nop 4
v_max_f16 v8 v8 v8 row_shr:1
s_nop 1
v_max_f16 v8 v8 v8 row_shr:2
s_nop 1
v_max_f16 v8 v8 v8 row_shr:4 bank_mask:0xe
s_nop 1
v_max_f16 v8 v8 v8 row_shr:8 bank_mask:0xc
s_nop 1
v_max_f16 v8 v8 v8 row_bcast:15 row_mask:0xa
s_nop 1
v_max_f16 v8 v8 v8 row_bcast:31 row_mask:0xc
s_nop 1

	;;#ASMEND
	s_and_saveexec_b64 s[8:9], s[6:7]
	s_cbranch_execz .LBB1_14
; %bb.13:
	v_lshrrev_b32_e32 v9, 5, v0
	v_and_b32_e32 v9, 30, v9
	ds_write_b16 v9, v8 offset:16
.LBB1_14:
	s_or_b64 exec, exec, s[8:9]
	v_mov_b32_e32 v8, 0
	s_waitcnt lgkmcnt(0)
	s_barrier
	ds_read_b64 v[9:10], v8 offset:16
	s_mov_b32 s8, 0xfbff
	s_movk_i32 s16, 0x7c01
	v_mov_b32_e32 v14, 0xfbff
	s_movk_i32 s17, 0x7c00
	s_waitcnt lgkmcnt(0)
	v_and_b32_e32 v13, 0x7fff, v9
	v_cmp_gt_f16_e64 s[8:9], s8, v9
	v_cndmask_b32_e64 v15, v9, v14, s[8:9]
	v_cmp_gt_u16_e64 s[10:11], s16, v13
	v_cndmask_b32_e64 v13, v14, v15, s[10:11]
	v_mov_b32_e32 v14, 0x7bff
	v_lshrrev_b32_e32 v11, 16, v9
	v_cndmask_b32_e64 v9, v9, v14, s[8:9]
	v_and_b32_e32 v9, 0x7fff, v9
	v_cmp_lt_u16_e64 s[8:9], s17, v9
	v_and_b32_e32 v9, 0x7fff, v11
	s_and_b64 s[14:15], s[10:11], s[8:9]
	v_cmp_lt_u16_e64 s[10:11], s17, v9
	v_cmp_gt_f16_e64 s[12:13], v13, v11
	v_cmp_gt_u16_e64 s[8:9], s16, v9
	v_cndmask_b32_e64 v9, v11, v13, s[12:13]
	v_mov_b32_e32 v14, 0x7fff
	s_and_b64 s[10:11], s[10:11], s[14:15]
	v_cndmask_b32_e64 v9, v9, v14, s[10:11]
	s_or_b64 s[10:11], s[8:9], s[14:15]
	v_cndmask_b32_e64 v9, v13, v9, s[10:11]
	s_and_b64 s[8:9], s[8:9], s[14:15]
	v_cndmask_b32_e64 v9, v9, v11, s[8:9]
	v_and_b32_e32 v11, 0x7fff, v9
	v_cmp_lt_u16_e64 s[8:9], s17, v11
	v_and_b32_e32 v11, 0x7fff, v10
	v_cmp_lt_u16_e64 s[12:13], s17, v11
	v_cmp_gt_f16_e64 s[14:15], v9, v10
	v_cmp_gt_u16_e64 s[10:11], s16, v11
	v_cndmask_b32_e64 v11, v10, v9, s[14:15]
	s_and_b64 s[12:13], s[12:13], s[8:9]
	v_cndmask_b32_e64 v11, v11, v14, s[12:13]
	s_or_b64 s[12:13], s[10:11], s[8:9]
	v_cndmask_b32_e64 v9, v9, v11, s[12:13]
	s_and_b64 s[8:9], s[10:11], s[8:9]
	v_cndmask_b32_e64 v9, v9, v10, s[8:9]
	v_lshrrev_b32_e32 v12, 16, v10
	v_and_b32_e32 v10, 0x7fff, v9
	v_cmp_lt_u16_e64 s[8:9], s17, v10
	v_and_b32_e32 v10, 0x7fff, v12
	v_cmp_lt_u16_e64 s[12:13], s17, v10
	v_cmp_gt_f16_e64 s[14:15], v9, v12
	v_cmp_gt_u16_e64 s[10:11], s16, v10
	v_cndmask_b32_e64 v10, v12, v9, s[14:15]
	s_and_b64 s[12:13], s[12:13], s[8:9]
	v_cndmask_b32_e64 v10, v10, v14, s[12:13]
	s_or_b64 s[12:13], s[10:11], s[8:9]
	v_cndmask_b32_e64 v9, v9, v10, s[12:13]
	s_and_b64 s[8:9], s[10:11], s[8:9]
	v_cndmask_b32_e64 v9, v9, v12, s[8:9]
	v_sub_f16_e32 v10, v5, v9
	v_cvt_f32_f16_e32 v10, v10
	v_sub_f16_e32 v11, v3, v9
	v_cvt_f32_f16_e32 v11, v11
	v_sub_f16_e32 v12, v7, v9
	v_mul_f32_e32 v10, 0x3fb8aa3b, v10
	v_cvt_f32_f16_e32 v12, v12
	v_exp_f32_e32 v10, v10
	v_sub_f16_e32 v9, v6, v9
	v_cvt_f32_f16_e32 v9, v9
	v_mul_f32_e32 v11, 0x3fb8aa3b, v11
	v_exp_f32_e32 v11, v11
	v_mul_f32_e32 v12, 0x3fb8aa3b, v12
	v_cvt_f16_f32_e32 v10, v10
	v_exp_f32_e32 v12, v12
	v_mul_f32_e32 v9, 0x3fb8aa3b, v9
	v_exp_f32_e32 v9, v9
	v_cvt_f16_f32_e32 v11, v11
	v_cndmask_b32_e32 v5, v5, v10, vcc
	v_cvt_f16_f32_e32 v10, v12
	v_cvt_f16_f32_e32 v12, v9
	v_cvt_f32_f16_e32 v9, v5
	v_cndmask_b32_e64 v3, v3, v11, s[4:5]
	v_cndmask_b32_e64 v5, v7, v10, s[2:3]
	v_cvt_f32_f16_e32 v7, v3
	v_add_f32_e32 v3, 0, v9
	v_cvt_f32_f16_e32 v5, v5
	v_cndmask_b32_e64 v6, v6, v12, s[0:1]
	v_cndmask_b32_e32 v10, 0, v3, vcc
	v_add_f32_e32 v11, v10, v7
	v_cvt_f32_f16_e32 v3, v6
	v_cndmask_b32_e64 v6, v10, v11, s[4:5]
	v_add_f32_e32 v10, v6, v5
	v_cndmask_b32_e64 v6, v6, v10, s[2:3]
	v_add_f32_e32 v10, v6, v3
	v_cndmask_b32_e64 v6, v6, v10, s[0:1]
	;;#ASMSTART
	s_nop 4
v_add_f32 v6 v6 v6 row_shr:1
s_nop 1
v_add_f32 v6 v6 v6 row_shr:2
s_nop 1
v_add_f32 v6 v6 v6 row_shr:4 bank_mask:0xe
s_nop 1
v_add_f32 v6 v6 v6 row_shr:8 bank_mask:0xc
s_nop 1
v_add_f32 v6 v6 v6 row_bcast:15 row_mask:0xa
s_nop 1
v_add_f32 v6 v6 v6 row_bcast:31 row_mask:0xc
s_nop 1

	;;#ASMEND
	s_and_saveexec_b64 s[8:9], s[6:7]
	s_cbranch_execz .LBB1_16
; %bb.15:
	v_lshrrev_b32_e32 v0, 4, v0
	v_and_b32_e32 v0, 60, v0
	ds_write_b32 v0, v6
.LBB1_16:
	s_or_b64 exec, exec, s[8:9]
	s_waitcnt lgkmcnt(0)
	s_barrier
	ds_read_b128 v[10:13], v8
	v_mov_b32_e32 v8, s19
	s_waitcnt lgkmcnt(0)
	v_add_f32_e32 v0, 0, v10
	v_add_f32_e32 v0, v0, v11
	;; [unrolled: 1-line block ×4, first 2 shown]
	v_add_co_u32_e64 v0, s[6:7], s18, v1
	v_addc_co_u32_e64 v1, s[6:7], v8, v2, s[6:7]
	s_and_saveexec_b64 s[6:7], vcc
	s_cbranch_execnz .LBB1_23
; %bb.17:
	s_or_b64 exec, exec, s[6:7]
	s_and_saveexec_b64 s[6:7], s[4:5]
	s_cbranch_execnz .LBB1_24
.LBB1_18:
	s_or_b64 exec, exec, s[6:7]
	s_and_saveexec_b64 s[4:5], s[2:3]
	s_cbranch_execnz .LBB1_25
.LBB1_19:
	s_or_b64 exec, exec, s[4:5]
	s_and_saveexec_b64 s[2:3], s[0:1]
	s_cbranch_execnz .LBB1_26
.LBB1_20:
	s_endpgm
.LBB1_21:
	v_mov_b32_e32 v9, 0x7bff
	v_cndmask_b32_e64 v9, v5, v9, s[8:9]
	v_and_b32_e32 v9, 0x7fff, v9
	s_movk_i32 s10, 0x7c00
	v_cmp_lt_u16_e64 s[8:9], s10, v9
	v_and_b32_e32 v9, 0x7fff, v3
	s_and_b64 s[16:17], s[6:7], s[8:9]
	v_cmp_lt_u16_e64 s[8:9], s10, v9
	v_cmp_gt_f16_e64 s[10:11], v8, v3
	v_cmp_gt_u16_e64 s[6:7], s14, v9
	v_cndmask_b32_e64 v9, v3, v8, s[10:11]
	v_mov_b32_e32 v10, 0x7fff
	s_and_b64 s[8:9], s[16:17], s[8:9]
	v_cndmask_b32_e64 v9, v9, v10, s[8:9]
	s_or_b64 s[8:9], s[16:17], s[6:7]
	v_cndmask_b32_e64 v8, v8, v9, s[8:9]
	s_and_b64 s[6:7], s[16:17], s[6:7]
	v_cndmask_b32_e64 v8, v8, v3, s[6:7]
	s_or_b64 exec, exec, s[12:13]
	s_and_saveexec_b64 s[14:15], s[2:3]
	s_cbranch_execz .LBB1_10
.LBB1_22:
	v_and_b32_e32 v9, 0x7fff, v8
	s_movk_i32 s10, 0x7c00
	v_cmp_lt_u16_e64 s[6:7], s10, v9
	v_and_b32_e32 v9, 0x7fff, v7
	s_movk_i32 s8, 0x7c01
	v_cmp_lt_u16_e64 s[10:11], s10, v9
	v_cmp_gt_f16_e64 s[12:13], v8, v7
	v_cmp_gt_u16_e64 s[8:9], s8, v9
	v_cndmask_b32_e64 v9, v7, v8, s[12:13]
	v_mov_b32_e32 v10, 0x7fff
	s_and_b64 s[10:11], s[10:11], s[6:7]
	v_cndmask_b32_e64 v9, v9, v10, s[10:11]
	s_or_b64 s[10:11], s[8:9], s[6:7]
	v_cndmask_b32_e64 v8, v8, v9, s[10:11]
	s_and_b64 s[6:7], s[8:9], s[6:7]
	v_cndmask_b32_e64 v8, v8, v7, s[6:7]
	s_or_b64 exec, exec, s[14:15]
	s_and_saveexec_b64 s[14:15], s[0:1]
	s_cbranch_execnz .LBB1_11
	s_branch .LBB1_12
.LBB1_23:
	v_div_scale_f32 v2, s[8:9], v6, v6, v9
	v_div_scale_f32 v8, vcc, v9, v6, v9
	v_rcp_f32_e32 v10, v2
	v_fma_f32 v11, -v2, v10, 1.0
	v_fmac_f32_e32 v10, v11, v10
	v_mul_f32_e32 v11, v8, v10
	v_fma_f32 v12, -v2, v11, v8
	v_fmac_f32_e32 v11, v12, v10
	v_fma_f32 v2, -v2, v11, v8
	v_div_fmas_f32 v2, v2, v10, v11
	v_add_co_u32_e32 v8, vcc, v0, v4
	v_div_fixup_f32 v2, v2, v6, v9
	v_cvt_f16_f32_e32 v2, v2
	v_addc_co_u32_e32 v9, vcc, 0, v1, vcc
	global_store_short v[8:9], v2, off
	s_or_b64 exec, exec, s[6:7]
	s_and_saveexec_b64 s[6:7], s[4:5]
	s_cbranch_execz .LBB1_18
.LBB1_24:
	v_div_scale_f32 v2, s[4:5], v6, v6, v7
	v_div_scale_f32 v8, vcc, v7, v6, v7
	v_rcp_f32_e32 v9, v2
	v_fma_f32 v10, -v2, v9, 1.0
	v_fmac_f32_e32 v9, v10, v9
	v_mul_f32_e32 v10, v8, v9
	v_fma_f32 v11, -v2, v10, v8
	v_fmac_f32_e32 v10, v11, v9
	v_fma_f32 v2, -v2, v10, v8
	v_div_fmas_f32 v2, v2, v9, v10
	v_div_fixup_f32 v2, v2, v6, v7
	v_cvt_f16_f32_e32 v2, v2
	v_add_co_u32_e32 v7, vcc, v0, v4
	v_addc_co_u32_e32 v8, vcc, 0, v1, vcc
	global_store_short v[7:8], v2, off offset:512
	s_or_b64 exec, exec, s[6:7]
	s_and_saveexec_b64 s[4:5], s[2:3]
	s_cbranch_execz .LBB1_19
.LBB1_25:
	v_div_scale_f32 v2, s[2:3], v6, v6, v5
	v_div_scale_f32 v7, vcc, v5, v6, v5
	v_rcp_f32_e32 v8, v2
	v_fma_f32 v9, -v2, v8, 1.0
	v_fmac_f32_e32 v8, v9, v8
	v_mul_f32_e32 v9, v7, v8
	v_fma_f32 v10, -v2, v9, v7
	v_fmac_f32_e32 v9, v10, v8
	v_fma_f32 v2, -v2, v9, v7
	v_div_fmas_f32 v2, v2, v8, v9
	v_add_co_u32_e32 v7, vcc, v0, v4
	v_addc_co_u32_e32 v8, vcc, 0, v1, vcc
	v_div_fixup_f32 v2, v2, v6, v5
	v_cvt_f16_f32_e32 v2, v2
	global_store_short v[7:8], v2, off offset:1024
	s_or_b64 exec, exec, s[4:5]
	s_and_saveexec_b64 s[2:3], s[0:1]
	s_cbranch_execz .LBB1_20
.LBB1_26:
	v_div_scale_f32 v2, s[0:1], v6, v6, v3
	v_div_scale_f32 v5, vcc, v3, v6, v3
	v_rcp_f32_e32 v7, v2
	v_fma_f32 v8, -v2, v7, 1.0
	v_fmac_f32_e32 v7, v8, v7
	v_mul_f32_e32 v8, v5, v7
	v_fma_f32 v9, -v2, v8, v5
	v_fmac_f32_e32 v8, v9, v7
	v_fma_f32 v2, -v2, v8, v5
	v_div_fmas_f32 v2, v2, v7, v8
	v_add_co_u32_e32 v0, vcc, v0, v4
	v_addc_co_u32_e32 v1, vcc, 0, v1, vcc
	v_div_fixup_f32 v2, v2, v6, v3
	v_cvt_f16_f32_e32 v2, v2
	global_store_short v[0:1], v2, off offset:1536
	s_endpgm
	.section	.rodata,"a",@progbits
	.p2align	6, 0x0
	.amdhsa_kernel softmax_f16
		.amdhsa_group_segment_fixed_size 24
		.amdhsa_private_segment_fixed_size 0
		.amdhsa_kernarg_size 272
		.amdhsa_user_sgpr_count 6
		.amdhsa_user_sgpr_private_segment_buffer 1
		.amdhsa_user_sgpr_dispatch_ptr 0
		.amdhsa_user_sgpr_queue_ptr 0
		.amdhsa_user_sgpr_kernarg_segment_ptr 1
		.amdhsa_user_sgpr_dispatch_id 0
		.amdhsa_user_sgpr_flat_scratch_init 0
		.amdhsa_user_sgpr_private_segment_size 0
		.amdhsa_uses_dynamic_stack 0
		.amdhsa_system_sgpr_private_segment_wavefront_offset 0
		.amdhsa_system_sgpr_workgroup_id_x 1
		.amdhsa_system_sgpr_workgroup_id_y 0
		.amdhsa_system_sgpr_workgroup_id_z 0
		.amdhsa_system_sgpr_workgroup_info 0
		.amdhsa_system_vgpr_workitem_id 0
		.amdhsa_next_free_vgpr 16
		.amdhsa_next_free_sgpr 20
		.amdhsa_reserve_vcc 1
		.amdhsa_reserve_flat_scratch 0
		.amdhsa_float_round_mode_32 0
		.amdhsa_float_round_mode_16_64 0
		.amdhsa_float_denorm_mode_32 3
		.amdhsa_float_denorm_mode_16_64 3
		.amdhsa_dx10_clamp 1
		.amdhsa_ieee_mode 1
		.amdhsa_fp16_overflow 0
		.amdhsa_exception_fp_ieee_invalid_op 0
		.amdhsa_exception_fp_denorm_src 0
		.amdhsa_exception_fp_ieee_div_zero 0
		.amdhsa_exception_fp_ieee_overflow 0
		.amdhsa_exception_fp_ieee_underflow 0
		.amdhsa_exception_fp_ieee_inexact 0
		.amdhsa_exception_int_div_zero 0
	.end_amdhsa_kernel
	.text
.Lfunc_end1:
	.size	softmax_f16, .Lfunc_end1-softmax_f16
                                        ; -- End function
	.section	.AMDGPU.csdata,"",@progbits
; Kernel info:
; codeLenInByte = 2132
; NumSgprs: 24
; NumVgprs: 16
; ScratchSize: 0
; MemoryBound: 0
; FloatMode: 240
; IeeeMode: 1
; LDSByteSize: 24 bytes/workgroup (compile time only)
; SGPRBlocks: 2
; VGPRBlocks: 3
; NumSGPRsForWavesPerEU: 24
; NumVGPRsForWavesPerEU: 16
; Occupancy: 8
; WaveLimiterHint : 0
; COMPUTE_PGM_RSRC2:SCRATCH_EN: 0
; COMPUTE_PGM_RSRC2:USER_SGPR: 6
; COMPUTE_PGM_RSRC2:TRAP_HANDLER: 0
; COMPUTE_PGM_RSRC2:TGID_X_EN: 1
; COMPUTE_PGM_RSRC2:TGID_Y_EN: 0
; COMPUTE_PGM_RSRC2:TGID_Z_EN: 0
; COMPUTE_PGM_RSRC2:TIDIG_COMP_CNT: 0
	.type	__hip_cuid_4adad02940e8e8a0,@object ; @__hip_cuid_4adad02940e8e8a0
	.section	.bss,"aw",@nobits
	.globl	__hip_cuid_4adad02940e8e8a0
__hip_cuid_4adad02940e8e8a0:
	.byte	0                               ; 0x0
	.size	__hip_cuid_4adad02940e8e8a0, 1

	.ident	"AMD clang version 19.0.0git (https://github.com/RadeonOpenCompute/llvm-project roc-6.4.0 25133 c7fe45cf4b819c5991fe208aaa96edf142730f1d)"
	.section	".note.GNU-stack","",@progbits
	.addrsig
	.addrsig_sym __hip_cuid_4adad02940e8e8a0
	.amdgpu_metadata
---
amdhsa.kernels:
  - .args:
      - .address_space:  global
        .offset:         0
        .size:           8
        .value_kind:     global_buffer
      - .address_space:  global
        .offset:         8
        .size:           8
        .value_kind:     global_buffer
      - .offset:         16
        .size:           4
        .value_kind:     hidden_block_count_x
      - .offset:         20
        .size:           4
        .value_kind:     hidden_block_count_y
      - .offset:         24
        .size:           4
        .value_kind:     hidden_block_count_z
      - .offset:         28
        .size:           2
        .value_kind:     hidden_group_size_x
      - .offset:         30
        .size:           2
        .value_kind:     hidden_group_size_y
      - .offset:         32
        .size:           2
        .value_kind:     hidden_group_size_z
      - .offset:         34
        .size:           2
        .value_kind:     hidden_remainder_x
      - .offset:         36
        .size:           2
        .value_kind:     hidden_remainder_y
      - .offset:         38
        .size:           2
        .value_kind:     hidden_remainder_z
      - .offset:         56
        .size:           8
        .value_kind:     hidden_global_offset_x
      - .offset:         64
        .size:           8
        .value_kind:     hidden_global_offset_y
      - .offset:         72
        .size:           8
        .value_kind:     hidden_global_offset_z
      - .offset:         80
        .size:           2
        .value_kind:     hidden_grid_dims
    .group_segment_fixed_size: 32
    .kernarg_segment_align: 8
    .kernarg_segment_size: 272
    .language:       OpenCL C
    .language_version:
      - 2
      - 0
    .max_flat_workgroup_size: 1024
    .name:           softmax_f32
    .private_segment_fixed_size: 0
    .sgpr_count:     17
    .sgpr_spill_count: 0
    .symbol:         softmax_f32.kd
    .uniform_work_group_size: 1
    .uses_dynamic_stack: false
    .vgpr_count:     15
    .vgpr_spill_count: 0
    .wavefront_size: 64
  - .args:
      - .address_space:  global
        .offset:         0
        .size:           8
        .value_kind:     global_buffer
      - .address_space:  global
        .offset:         8
        .size:           8
        .value_kind:     global_buffer
      - .offset:         16
        .size:           4
        .value_kind:     hidden_block_count_x
      - .offset:         20
        .size:           4
        .value_kind:     hidden_block_count_y
      - .offset:         24
        .size:           4
        .value_kind:     hidden_block_count_z
      - .offset:         28
        .size:           2
        .value_kind:     hidden_group_size_x
      - .offset:         30
        .size:           2
        .value_kind:     hidden_group_size_y
      - .offset:         32
        .size:           2
        .value_kind:     hidden_group_size_z
      - .offset:         34
        .size:           2
        .value_kind:     hidden_remainder_x
      - .offset:         36
        .size:           2
        .value_kind:     hidden_remainder_y
      - .offset:         38
        .size:           2
        .value_kind:     hidden_remainder_z
      - .offset:         56
        .size:           8
        .value_kind:     hidden_global_offset_x
      - .offset:         64
        .size:           8
        .value_kind:     hidden_global_offset_y
      - .offset:         72
        .size:           8
        .value_kind:     hidden_global_offset_z
      - .offset:         80
        .size:           2
        .value_kind:     hidden_grid_dims
    .group_segment_fixed_size: 24
    .kernarg_segment_align: 8
    .kernarg_segment_size: 272
    .language:       OpenCL C
    .language_version:
      - 2
      - 0
    .max_flat_workgroup_size: 1024
    .name:           softmax_f16
    .private_segment_fixed_size: 0
    .sgpr_count:     24
    .sgpr_spill_count: 0
    .symbol:         softmax_f16.kd
    .uniform_work_group_size: 1
    .uses_dynamic_stack: false
    .vgpr_count:     16
    .vgpr_spill_count: 0
    .wavefront_size: 64
amdhsa.target:   amdgcn-amd-amdhsa--gfx906
amdhsa.version:
  - 1
  - 2
...

	.end_amdgpu_metadata
